;; amdgpu-corpus repo=ROCm/rocFFT kind=compiled arch=gfx906 opt=O3
	.text
	.amdgcn_target "amdgcn-amd-amdhsa--gfx906"
	.amdhsa_code_object_version 6
	.protected	fft_rtc_back_len1134_factors_2_3_3_3_3_7_wgs_126_tpt_126_dp_ip_CI_unitstride_sbrr_R2C_dirReg ; -- Begin function fft_rtc_back_len1134_factors_2_3_3_3_3_7_wgs_126_tpt_126_dp_ip_CI_unitstride_sbrr_R2C_dirReg
	.globl	fft_rtc_back_len1134_factors_2_3_3_3_3_7_wgs_126_tpt_126_dp_ip_CI_unitstride_sbrr_R2C_dirReg
	.p2align	8
	.type	fft_rtc_back_len1134_factors_2_3_3_3_3_7_wgs_126_tpt_126_dp_ip_CI_unitstride_sbrr_R2C_dirReg,@function
fft_rtc_back_len1134_factors_2_3_3_3_3_7_wgs_126_tpt_126_dp_ip_CI_unitstride_sbrr_R2C_dirReg: ; @fft_rtc_back_len1134_factors_2_3_3_3_3_7_wgs_126_tpt_126_dp_ip_CI_unitstride_sbrr_R2C_dirReg
; %bb.0:
	s_load_dwordx2 s[12:13], s[4:5], 0x50
	s_load_dwordx4 s[8:11], s[4:5], 0x0
	s_load_dwordx2 s[2:3], s[4:5], 0x18
	v_mul_u32_u24_e32 v1, 0x209, v0
	v_add_u32_sdwa v5, s6, v1 dst_sel:DWORD dst_unused:UNUSED_PAD src0_sel:DWORD src1_sel:WORD_1
	v_mov_b32_e32 v3, 0
	s_waitcnt lgkmcnt(0)
	v_cmp_lt_u64_e64 s[0:1], s[10:11], 2
	v_mov_b32_e32 v1, 0
	v_mov_b32_e32 v6, v3
	s_and_b64 vcc, exec, s[0:1]
	v_mov_b32_e32 v2, 0
	s_cbranch_vccnz .LBB0_8
; %bb.1:
	s_load_dwordx2 s[0:1], s[4:5], 0x10
	s_add_u32 s6, s2, 8
	s_addc_u32 s7, s3, 0
	v_mov_b32_e32 v1, 0
	v_mov_b32_e32 v2, 0
	s_waitcnt lgkmcnt(0)
	s_add_u32 s14, s0, 8
	s_addc_u32 s15, s1, 0
	s_mov_b64 s[16:17], 1
.LBB0_2:                                ; =>This Inner Loop Header: Depth=1
	s_load_dwordx2 s[18:19], s[14:15], 0x0
                                        ; implicit-def: $vgpr7_vgpr8
	s_waitcnt lgkmcnt(0)
	v_or_b32_e32 v4, s19, v6
	v_cmp_ne_u64_e32 vcc, 0, v[3:4]
	s_and_saveexec_b64 s[0:1], vcc
	s_xor_b64 s[20:21], exec, s[0:1]
	s_cbranch_execz .LBB0_4
; %bb.3:                                ;   in Loop: Header=BB0_2 Depth=1
	v_cvt_f32_u32_e32 v4, s18
	v_cvt_f32_u32_e32 v7, s19
	s_sub_u32 s0, 0, s18
	s_subb_u32 s1, 0, s19
	v_mac_f32_e32 v4, 0x4f800000, v7
	v_rcp_f32_e32 v4, v4
	v_mul_f32_e32 v4, 0x5f7ffffc, v4
	v_mul_f32_e32 v7, 0x2f800000, v4
	v_trunc_f32_e32 v7, v7
	v_mac_f32_e32 v4, 0xcf800000, v7
	v_cvt_u32_f32_e32 v7, v7
	v_cvt_u32_f32_e32 v4, v4
	v_mul_lo_u32 v8, s0, v7
	v_mul_hi_u32 v9, s0, v4
	v_mul_lo_u32 v11, s1, v4
	v_mul_lo_u32 v10, s0, v4
	v_add_u32_e32 v8, v9, v8
	v_add_u32_e32 v8, v8, v11
	v_mul_hi_u32 v9, v4, v10
	v_mul_lo_u32 v11, v4, v8
	v_mul_hi_u32 v13, v4, v8
	v_mul_hi_u32 v12, v7, v10
	v_mul_lo_u32 v10, v7, v10
	v_mul_hi_u32 v14, v7, v8
	v_add_co_u32_e32 v9, vcc, v9, v11
	v_addc_co_u32_e32 v11, vcc, 0, v13, vcc
	v_mul_lo_u32 v8, v7, v8
	v_add_co_u32_e32 v9, vcc, v9, v10
	v_addc_co_u32_e32 v9, vcc, v11, v12, vcc
	v_addc_co_u32_e32 v10, vcc, 0, v14, vcc
	v_add_co_u32_e32 v8, vcc, v9, v8
	v_addc_co_u32_e32 v9, vcc, 0, v10, vcc
	v_add_co_u32_e32 v4, vcc, v4, v8
	v_addc_co_u32_e32 v7, vcc, v7, v9, vcc
	v_mul_lo_u32 v8, s0, v7
	v_mul_hi_u32 v9, s0, v4
	v_mul_lo_u32 v10, s1, v4
	v_mul_lo_u32 v11, s0, v4
	v_add_u32_e32 v8, v9, v8
	v_add_u32_e32 v8, v8, v10
	v_mul_lo_u32 v12, v4, v8
	v_mul_hi_u32 v13, v4, v11
	v_mul_hi_u32 v14, v4, v8
	;; [unrolled: 1-line block ×3, first 2 shown]
	v_mul_lo_u32 v11, v7, v11
	v_mul_hi_u32 v9, v7, v8
	v_add_co_u32_e32 v12, vcc, v13, v12
	v_addc_co_u32_e32 v13, vcc, 0, v14, vcc
	v_mul_lo_u32 v8, v7, v8
	v_add_co_u32_e32 v11, vcc, v12, v11
	v_addc_co_u32_e32 v10, vcc, v13, v10, vcc
	v_addc_co_u32_e32 v9, vcc, 0, v9, vcc
	v_add_co_u32_e32 v8, vcc, v10, v8
	v_addc_co_u32_e32 v9, vcc, 0, v9, vcc
	v_add_co_u32_e32 v4, vcc, v4, v8
	v_addc_co_u32_e32 v9, vcc, v7, v9, vcc
	v_mad_u64_u32 v[7:8], s[0:1], v5, v9, 0
	v_mul_hi_u32 v10, v5, v4
	v_add_co_u32_e32 v11, vcc, v10, v7
	v_addc_co_u32_e32 v12, vcc, 0, v8, vcc
	v_mad_u64_u32 v[7:8], s[0:1], v6, v4, 0
	v_mad_u64_u32 v[9:10], s[0:1], v6, v9, 0
	v_add_co_u32_e32 v4, vcc, v11, v7
	v_addc_co_u32_e32 v4, vcc, v12, v8, vcc
	v_addc_co_u32_e32 v7, vcc, 0, v10, vcc
	v_add_co_u32_e32 v4, vcc, v4, v9
	v_addc_co_u32_e32 v9, vcc, 0, v7, vcc
	v_mul_lo_u32 v10, s19, v4
	v_mul_lo_u32 v11, s18, v9
	v_mad_u64_u32 v[7:8], s[0:1], s18, v4, 0
	v_add3_u32 v8, v8, v11, v10
	v_sub_u32_e32 v10, v6, v8
	v_mov_b32_e32 v11, s19
	v_sub_co_u32_e32 v7, vcc, v5, v7
	v_subb_co_u32_e64 v10, s[0:1], v10, v11, vcc
	v_subrev_co_u32_e64 v11, s[0:1], s18, v7
	v_subbrev_co_u32_e64 v10, s[0:1], 0, v10, s[0:1]
	v_cmp_le_u32_e64 s[0:1], s19, v10
	v_cndmask_b32_e64 v12, 0, -1, s[0:1]
	v_cmp_le_u32_e64 s[0:1], s18, v11
	v_cndmask_b32_e64 v11, 0, -1, s[0:1]
	v_cmp_eq_u32_e64 s[0:1], s19, v10
	v_cndmask_b32_e64 v10, v12, v11, s[0:1]
	v_add_co_u32_e64 v11, s[0:1], 2, v4
	v_addc_co_u32_e64 v12, s[0:1], 0, v9, s[0:1]
	v_add_co_u32_e64 v13, s[0:1], 1, v4
	v_addc_co_u32_e64 v14, s[0:1], 0, v9, s[0:1]
	v_subb_co_u32_e32 v8, vcc, v6, v8, vcc
	v_cmp_ne_u32_e64 s[0:1], 0, v10
	v_cmp_le_u32_e32 vcc, s19, v8
	v_cndmask_b32_e64 v10, v14, v12, s[0:1]
	v_cndmask_b32_e64 v12, 0, -1, vcc
	v_cmp_le_u32_e32 vcc, s18, v7
	v_cndmask_b32_e64 v7, 0, -1, vcc
	v_cmp_eq_u32_e32 vcc, s19, v8
	v_cndmask_b32_e32 v7, v12, v7, vcc
	v_cmp_ne_u32_e32 vcc, 0, v7
	v_cndmask_b32_e64 v7, v13, v11, s[0:1]
	v_cndmask_b32_e32 v8, v9, v10, vcc
	v_cndmask_b32_e32 v7, v4, v7, vcc
.LBB0_4:                                ;   in Loop: Header=BB0_2 Depth=1
	s_andn2_saveexec_b64 s[0:1], s[20:21]
	s_cbranch_execz .LBB0_6
; %bb.5:                                ;   in Loop: Header=BB0_2 Depth=1
	v_cvt_f32_u32_e32 v4, s18
	s_sub_i32 s20, 0, s18
	v_rcp_iflag_f32_e32 v4, v4
	v_mul_f32_e32 v4, 0x4f7ffffe, v4
	v_cvt_u32_f32_e32 v4, v4
	v_mul_lo_u32 v7, s20, v4
	v_mul_hi_u32 v7, v4, v7
	v_add_u32_e32 v4, v4, v7
	v_mul_hi_u32 v4, v5, v4
	v_mul_lo_u32 v7, v4, s18
	v_add_u32_e32 v8, 1, v4
	v_sub_u32_e32 v7, v5, v7
	v_subrev_u32_e32 v9, s18, v7
	v_cmp_le_u32_e32 vcc, s18, v7
	v_cndmask_b32_e32 v7, v7, v9, vcc
	v_cndmask_b32_e32 v4, v4, v8, vcc
	v_add_u32_e32 v8, 1, v4
	v_cmp_le_u32_e32 vcc, s18, v7
	v_cndmask_b32_e32 v7, v4, v8, vcc
	v_mov_b32_e32 v8, v3
.LBB0_6:                                ;   in Loop: Header=BB0_2 Depth=1
	s_or_b64 exec, exec, s[0:1]
	v_mul_lo_u32 v4, v8, s18
	v_mul_lo_u32 v11, v7, s19
	v_mad_u64_u32 v[9:10], s[0:1], v7, s18, 0
	s_load_dwordx2 s[0:1], s[6:7], 0x0
	s_add_u32 s16, s16, 1
	v_add3_u32 v4, v10, v11, v4
	v_sub_co_u32_e32 v5, vcc, v5, v9
	v_subb_co_u32_e32 v4, vcc, v6, v4, vcc
	s_waitcnt lgkmcnt(0)
	v_mul_lo_u32 v4, s0, v4
	v_mul_lo_u32 v6, s1, v5
	v_mad_u64_u32 v[1:2], s[0:1], s0, v5, v[1:2]
	s_addc_u32 s17, s17, 0
	s_add_u32 s6, s6, 8
	v_add3_u32 v2, v6, v2, v4
	v_mov_b32_e32 v4, s10
	v_mov_b32_e32 v5, s11
	s_addc_u32 s7, s7, 0
	v_cmp_ge_u64_e32 vcc, s[16:17], v[4:5]
	s_add_u32 s14, s14, 8
	s_addc_u32 s15, s15, 0
	s_cbranch_vccnz .LBB0_9
; %bb.7:                                ;   in Loop: Header=BB0_2 Depth=1
	v_mov_b32_e32 v5, v7
	v_mov_b32_e32 v6, v8
	s_branch .LBB0_2
.LBB0_8:
	v_mov_b32_e32 v8, v6
	v_mov_b32_e32 v7, v5
.LBB0_9:
	s_lshl_b64 s[0:1], s[10:11], 3
	s_add_u32 s0, s2, s0
	s_addc_u32 s1, s3, s1
	s_load_dwordx2 s[2:3], s[0:1], 0x0
	s_load_dwordx2 s[6:7], s[4:5], 0x20
                                        ; implicit-def: $vgpr60
                                        ; implicit-def: $vgpr63
                                        ; implicit-def: $vgpr62
	s_waitcnt lgkmcnt(0)
	v_mad_u64_u32 v[1:2], s[0:1], s2, v7, v[1:2]
	s_mov_b32 s0, 0x2082083
	v_mul_lo_u32 v3, s2, v8
	v_mul_lo_u32 v4, s3, v7
	v_mul_hi_u32 v5, v0, s0
	v_cmp_gt_u64_e64 s[0:1], s[6:7], v[7:8]
	v_cmp_le_u64_e32 vcc, s[6:7], v[7:8]
	v_add3_u32 v2, v4, v2, v3
	v_mul_u32_u24_e32 v3, 0x7e, v5
	v_sub_u32_e32 v56, v0, v3
	s_and_saveexec_b64 s[2:3], vcc
	s_xor_b64 s[2:3], exec, s[2:3]
; %bb.10:
	v_add_u32_e32 v60, 0x7e, v56
	v_add_u32_e32 v63, 0xfc, v56
	;; [unrolled: 1-line block ×3, first 2 shown]
; %bb.11:
	s_or_saveexec_b64 s[2:3], s[2:3]
	v_lshlrev_b64 v[58:59], 4, v[1:2]
	s_xor_b64 exec, exec, s[2:3]
	s_cbranch_execz .LBB0_13
; %bb.12:
	v_mov_b32_e32 v57, 0
	v_mov_b32_e32 v0, s13
	v_add_co_u32_e32 v2, vcc, s12, v58
	v_addc_co_u32_e32 v3, vcc, v0, v59, vcc
	v_lshlrev_b64 v[0:1], 4, v[56:57]
	s_movk_i32 s4, 0x1000
	v_add_co_u32_e32 v23, vcc, v2, v0
	v_addc_co_u32_e32 v24, vcc, v3, v1, vcc
	v_add_co_u32_e32 v25, vcc, s4, v23
	v_addc_co_u32_e32 v26, vcc, 0, v24, vcc
	;; [unrolled: 2-line block ×3, first 2 shown]
	v_add_co_u32_e32 v38, vcc, 0x3000, v23
	global_load_dwordx4 v[0:3], v[23:24], off
	global_load_dwordx4 v[4:7], v[23:24], off offset:2016
	global_load_dwordx4 v[8:11], v[23:24], off offset:4032
	;; [unrolled: 1-line block ×4, first 2 shown]
	s_nop 0
	global_load_dwordx4 v[20:23], v[36:37], off offset:1888
	v_addc_co_u32_e32 v39, vcc, 0, v24, vcc
	global_load_dwordx4 v[24:27], v[36:37], off offset:3904
	global_load_dwordx4 v[28:31], v[38:39], off offset:1824
	;; [unrolled: 1-line block ×3, first 2 shown]
	v_lshl_add_u32 v36, v56, 4, 0
	v_add_u32_e32 v60, 0x7e, v56
	v_add_u32_e32 v63, 0xfc, v56
	;; [unrolled: 1-line block ×3, first 2 shown]
	s_waitcnt vmcnt(8)
	ds_write_b128 v36, v[0:3]
	s_waitcnt vmcnt(7)
	ds_write_b128 v36, v[4:7] offset:2016
	s_waitcnt vmcnt(6)
	ds_write_b128 v36, v[8:11] offset:4032
	;; [unrolled: 2-line block ×8, first 2 shown]
.LBB0_13:
	s_or_b64 exec, exec, s[2:3]
	v_lshlrev_b32_e32 v57, 4, v56
	v_add_u32_e32 v65, 0, v57
	s_waitcnt lgkmcnt(0)
	s_barrier
	ds_read_b128 v[0:3], v65 offset:9072
	ds_read_b128 v[8:11], v65
	ds_read_b128 v[12:15], v65 offset:2016
	ds_read_b128 v[4:7], v65 offset:8064
	;; [unrolled: 1-line block ×3, first 2 shown]
	v_lshl_add_u32 v67, v63, 5, 0
	s_waitcnt lgkmcnt(3)
	v_add_f64 v[20:21], v[8:9], -v[0:1]
	v_add_f64 v[22:23], v[10:11], -v[2:3]
	ds_read_b128 v[0:3], v65 offset:13104
	ds_read_b128 v[24:27], v65 offset:4032
	;; [unrolled: 1-line block ×4, first 2 shown]
	s_waitcnt lgkmcnt(4)
	v_add_f64 v[16:17], v[12:13], -v[16:17]
	v_add_f64 v[18:19], v[14:15], -v[18:19]
	v_lshl_add_u32 v66, v62, 5, 0
	s_waitcnt lgkmcnt(2)
	v_add_f64 v[36:37], v[24:25], -v[0:1]
	v_add_f64 v[38:39], v[26:27], -v[2:3]
	s_waitcnt lgkmcnt(0)
	v_add_f64 v[32:33], v[28:29], -v[32:33]
	v_add_f64 v[34:35], v[30:31], -v[34:35]
	ds_read_b128 v[0:3], v65 offset:17136
	v_fma_f64 v[40:41], v[8:9], 2.0, -v[20:21]
	v_fma_f64 v[42:43], v[10:11], 2.0, -v[22:23]
	;; [unrolled: 1-line block ×8, first 2 shown]
	s_waitcnt lgkmcnt(0)
	v_add_f64 v[0:1], v[4:5], -v[0:1]
	v_add_f64 v[2:3], v[6:7], -v[2:3]
	v_add_u32_e32 v8, v65, v57
	v_lshl_add_u32 v12, v60, 5, 0
	v_cmp_gt_u32_e32 vcc, 63, v56
	s_barrier
	ds_write_b128 v8, v[40:43]
	ds_write_b128 v8, v[20:23] offset:16
	ds_write_b128 v12, v[44:47]
	ds_write_b128 v12, v[16:19] offset:16
	;; [unrolled: 2-line block ×4, first 2 shown]
	s_and_saveexec_b64 s[2:3], vcc
	s_cbranch_execz .LBB0_15
; %bb.14:
	v_fma_f64 v[6:7], v[6:7], 2.0, -v[2:3]
	v_fma_f64 v[4:5], v[4:5], 2.0, -v[0:1]
	ds_write_b128 v8, v[4:7] offset:16128
	ds_write_b128 v8, v[0:3] offset:16144
.LBB0_15:
	s_or_b64 exec, exec, s[2:3]
	v_and_b32_e32 v11, 1, v56
	v_lshlrev_b32_e32 v4, 5, v11
	s_waitcnt lgkmcnt(0)
	s_barrier
	global_load_dwordx4 v[7:10], v4, s[8:9]
	global_load_dwordx4 v[14:17], v4, s[8:9] offset:16
	v_lshrrev_b32_e32 v43, 1, v60
	v_lshlrev_b32_e32 v61, 4, v62
	v_lshrrev_b32_e32 v44, 1, v63
	v_mul_lo_u32 v55, v43, 6
	v_lshlrev_b32_e32 v13, 4, v60
	ds_read_b128 v[18:21], v65 offset:12096
	ds_read_b128 v[22:25], v65 offset:10080
	;; [unrolled: 1-line block ×5, first 2 shown]
	ds_read_b128 v[38:41], v65
	v_lshlrev_b32_e32 v64, 4, v63
	v_lshrrev_b32_e32 v42, 1, v56
	v_sub_u32_e32 v5, v66, v61
	v_mul_lo_u32 v68, v44, 6
	v_sub_u32_e32 v6, v12, v13
	v_sub_u32_e32 v4, v67, v64
	v_mul_u32_u24_e32 v54, 6, v42
	ds_read_b128 v[42:45], v5
	ds_read_b128 v[46:49], v6
	;; [unrolled: 1-line block ×3, first 2 shown]
	s_movk_i32 s6, 0xab
	v_or_b32_e32 v54, v54, v11
	v_mul_lo_u16_sdwa v69, v56, s6 dst_sel:DWORD dst_unused:UNUSED_PAD src0_sel:BYTE_0 src1_sel:DWORD
	v_lshl_add_u32 v87, v54, 4, 0
	v_or_b32_e32 v54, v55, v11
	v_lshrrev_b16_e32 v86, 10, v69
	v_or_b32_e32 v11, v68, v11
	v_lshl_add_u32 v89, v54, 4, 0
	s_mov_b32 s2, 0xe8584caa
	s_mov_b32 s3, 0xbfebb67a
	;; [unrolled: 1-line block ×4, first 2 shown]
	v_mul_lo_u16_e32 v88, 6, v86
	s_waitcnt vmcnt(0) lgkmcnt(0)
	s_barrier
	v_lshl_add_u32 v11, v11, 4, 0
	v_sub_u32_e32 v13, 0, v13
	v_mul_f64 v[54:55], v[44:45], v[9:10]
	v_mul_f64 v[68:69], v[42:43], v[9:10]
	;; [unrolled: 1-line block ×12, first 2 shown]
	v_fma_f64 v[42:43], v[42:43], v[7:8], v[54:55]
	v_fma_f64 v[44:45], v[44:45], v[7:8], -v[68:69]
	v_fma_f64 v[34:35], v[34:35], v[7:8], v[70:71]
	v_fma_f64 v[36:37], v[36:37], v[7:8], -v[72:73]
	;; [unrolled: 2-line block ×6, first 2 shown]
	v_add_f64 v[14:15], v[40:41], v[44:45]
	v_add_f64 v[72:73], v[46:47], v[34:35]
	v_add_f64 v[30:31], v[42:43], v[18:19]
	v_add_f64 v[32:33], v[44:45], -v[9:10]
	v_add_f64 v[44:45], v[44:45], v[9:10]
	v_add_f64 v[54:55], v[34:35], v[20:21]
	v_add_f64 v[68:69], v[36:37], v[24:25]
	v_add_f64 v[76:77], v[34:35], -v[20:21]
	;; [unrolled: 4-line block ×3, first 2 shown]
	v_add_f64 v[70:71], v[48:49], v[36:37]
	v_fma_f64 v[30:31], v[30:31], -0.5, v[38:39]
	v_fma_f64 v[38:39], v[44:45], -0.5, v[40:41]
	v_add_f64 v[74:75], v[52:53], v[7:8]
	v_add_f64 v[80:81], v[50:51], v[22:23]
	v_add_f64 v[36:37], v[36:37], -v[24:25]
	v_fma_f64 v[40:41], v[54:55], -0.5, v[46:47]
	v_fma_f64 v[44:45], v[68:69], -0.5, v[48:49]
	v_add_f64 v[78:79], v[7:8], -v[28:29]
	v_add_f64 v[84:85], v[22:23], -v[26:27]
	v_fma_f64 v[46:47], v[82:83], -0.5, v[50:51]
	v_fma_f64 v[48:49], v[34:35], -0.5, v[52:53]
	v_add_f64 v[9:10], v[14:15], v[9:10]
	v_add_f64 v[7:8], v[16:17], v[18:19]
	;; [unrolled: 1-line block ×3, first 2 shown]
	v_fma_f64 v[22:23], v[32:33], s[2:3], v[30:31]
	v_fma_f64 v[24:25], v[42:43], s[4:5], v[38:39]
	v_add_f64 v[14:15], v[72:73], v[20:21]
	v_add_f64 v[20:21], v[74:75], v[28:29]
	v_add_f64 v[18:19], v[80:81], v[26:27]
	v_fma_f64 v[26:27], v[32:33], s[4:5], v[30:31]
	v_fma_f64 v[28:29], v[42:43], s[2:3], v[38:39]
	;; [unrolled: 1-line block ×10, first 2 shown]
	ds_write_b128 v87, v[7:10]
	ds_write_b128 v87, v[22:25] offset:32
	ds_write_b128 v87, v[26:29] offset:64
	ds_write_b128 v89, v[14:17]
	ds_write_b128 v89, v[30:33] offset:32
	ds_write_b128 v89, v[34:37] offset:64
	;; [unrolled: 3-line block ×3, first 2 shown]
	v_sub_u16_e32 v9, v56, v88
	v_mov_b32_e32 v7, 5
	v_lshlrev_b32_sdwa v8, v7, v9 dst_sel:DWORD dst_unused:UNUSED_PAD src0_sel:DWORD src1_sel:BYTE_0
	s_waitcnt lgkmcnt(0)
	s_barrier
	global_load_dwordx4 v[14:17], v8, s[8:9] offset:64
	global_load_dwordx4 v[18:21], v8, s[8:9] offset:80
	v_mul_lo_u16_sdwa v8, v60, s6 dst_sel:DWORD dst_unused:UNUSED_PAD src0_sel:BYTE_0 src1_sel:DWORD
	v_lshrrev_b16_e32 v10, 10, v8
	v_mul_lo_u16_e32 v8, 6, v10
	v_sub_u16_e32 v11, v60, v8
	v_lshlrev_b32_sdwa v8, v7, v11 dst_sel:DWORD dst_unused:UNUSED_PAD src0_sel:DWORD src1_sel:BYTE_0
	s_mov_b32 s6, 0xaaab
	global_load_dwordx4 v[22:25], v8, s[8:9] offset:64
	global_load_dwordx4 v[26:29], v8, s[8:9] offset:80
	v_mul_u32_u24_sdwa v8, v63, s6 dst_sel:DWORD dst_unused:UNUSED_PAD src0_sel:WORD_0 src1_sel:DWORD
	v_lshrrev_b32_e32 v38, 18, v8
	v_mul_lo_u16_e32 v8, 6, v38
	v_sub_u16_e32 v39, v63, v8
	v_lshlrev_b32_e32 v8, 5, v39
	global_load_dwordx4 v[30:33], v8, s[8:9] offset:64
	global_load_dwordx4 v[34:37], v8, s[8:9] offset:80
	v_mov_b32_e32 v8, 4
	v_mul_u32_u24_e32 v40, 0x120, v86
	v_mul_u32_u24_e32 v10, 0x120, v10
	;; [unrolled: 1-line block ×3, first 2 shown]
	v_lshlrev_b32_sdwa v9, v8, v9 dst_sel:DWORD dst_unused:UNUSED_PAD src0_sel:DWORD src1_sel:BYTE_0
	v_lshlrev_b32_sdwa v11, v8, v11 dst_sel:DWORD dst_unused:UNUSED_PAD src0_sel:DWORD src1_sel:BYTE_0
	v_lshlrev_b32_e32 v39, 4, v39
	v_add3_u32 v96, 0, v40, v9
	v_add3_u32 v11, 0, v10, v11
	;; [unrolled: 1-line block ×3, first 2 shown]
	ds_read_b128 v[38:41], v5
	ds_read_b128 v[42:45], v6
	ds_read_b128 v[46:49], v65 offset:12096
	ds_read_b128 v[50:53], v65 offset:10080
	;; [unrolled: 1-line block ×5, first 2 shown]
	ds_read_b128 v[80:83], v65
	ds_read_b128 v[84:87], v4
	s_waitcnt vmcnt(0) lgkmcnt(0)
	s_barrier
	s_mov_b32 s6, 0xe38f
	v_mul_f64 v[9:10], v[40:41], v[16:17]
	v_mul_f64 v[16:17], v[38:39], v[16:17]
	;; [unrolled: 1-line block ×8, first 2 shown]
	v_fma_f64 v[9:10], v[38:39], v[14:15], v[9:10]
	v_fma_f64 v[14:15], v[40:41], v[14:15], -v[16:17]
	v_mul_f64 v[92:93], v[52:53], v[32:33]
	v_mul_f64 v[32:33], v[50:51], v[32:33]
	;; [unrolled: 1-line block ×4, first 2 shown]
	v_fma_f64 v[38:39], v[46:47], v[18:19], v[54:55]
	v_fma_f64 v[16:17], v[48:49], v[18:19], -v[20:21]
	v_fma_f64 v[18:19], v[76:77], v[22:23], v[88:89]
	v_fma_f64 v[20:21], v[78:79], v[22:23], -v[24:25]
	;; [unrolled: 2-line block ×5, first 2 shown]
	v_add_f64 v[34:35], v[9:10], v[38:39]
	v_add_f64 v[36:37], v[14:15], v[16:17]
	;; [unrolled: 1-line block ×8, first 2 shown]
	v_add_f64 v[48:49], v[14:15], -v[16:17]
	v_add_f64 v[9:10], v[9:10], -v[38:39]
	v_add_f64 v[68:69], v[42:43], v[18:19]
	v_add_f64 v[78:79], v[86:87], v[28:29]
	;; [unrolled: 1-line block ×3, first 2 shown]
	v_add_f64 v[90:91], v[28:29], -v[32:33]
	v_fma_f64 v[28:29], v[34:35], -0.5, v[80:81]
	v_fma_f64 v[34:35], v[36:37], -0.5, v[82:83]
	v_add_f64 v[54:55], v[44:45], v[20:21]
	v_add_f64 v[70:71], v[20:21], -v[24:25]
	v_add_f64 v[72:73], v[18:19], -v[22:23]
	v_add_f64 v[16:17], v[40:41], v[16:17]
	v_fma_f64 v[36:37], v[50:51], -0.5, v[42:43]
	v_fma_f64 v[40:41], v[52:53], -0.5, v[44:45]
	v_add_f64 v[92:93], v[26:27], -v[30:31]
	v_fma_f64 v[44:45], v[74:75], -0.5, v[84:85]
	v_fma_f64 v[50:51], v[76:77], -0.5, v[86:87]
	v_add_f64 v[14:15], v[46:47], v[38:39]
	v_add_f64 v[18:19], v[68:69], v[22:23]
	;; [unrolled: 1-line block ×3, first 2 shown]
	v_fma_f64 v[26:27], v[48:49], s[2:3], v[28:29]
	v_fma_f64 v[30:31], v[48:49], s[4:5], v[28:29]
	;; [unrolled: 1-line block ×3, first 2 shown]
	v_add_f64 v[20:21], v[54:55], v[24:25]
	v_add_f64 v[24:25], v[78:79], v[32:33]
	v_fma_f64 v[32:33], v[9:10], s[2:3], v[34:35]
	v_fma_f64 v[34:35], v[70:71], s[2:3], v[36:37]
	;; [unrolled: 1-line block ×5, first 2 shown]
	v_mov_b32_e32 v9, 57
	v_mul_lo_u16_sdwa v10, v56, v9 dst_sel:DWORD dst_unused:UNUSED_PAD src0_sel:BYTE_0 src1_sel:DWORD
	v_fma_f64 v[42:43], v[90:91], s[2:3], v[44:45]
	v_fma_f64 v[46:47], v[90:91], s[4:5], v[44:45]
	;; [unrolled: 1-line block ×3, first 2 shown]
	v_lshrrev_b16_e32 v10, 10, v10
	v_fma_f64 v[48:49], v[92:93], s[2:3], v[50:51]
	ds_write_b128 v96, v[14:17]
	ds_write_b128 v96, v[26:29] offset:96
	ds_write_b128 v96, v[30:33] offset:192
	ds_write_b128 v11, v[18:21]
	ds_write_b128 v11, v[34:37] offset:96
	ds_write_b128 v11, v[38:41] offset:192
	ds_write_b128 v97, v[22:25]
	ds_write_b128 v97, v[42:45] offset:96
	ds_write_b128 v97, v[46:49] offset:192
	v_mul_lo_u16_e32 v11, 18, v10
	v_sub_u16_e32 v11, v56, v11
	v_mul_lo_u16_sdwa v9, v60, v9 dst_sel:DWORD dst_unused:UNUSED_PAD src0_sel:BYTE_0 src1_sel:DWORD
	v_lshlrev_b32_sdwa v22, v7, v11 dst_sel:DWORD dst_unused:UNUSED_PAD src0_sel:DWORD src1_sel:BYTE_0
	v_lshrrev_b16_e32 v9, 10, v9
	s_waitcnt lgkmcnt(0)
	s_barrier
	global_load_dwordx4 v[14:17], v22, s[8:9] offset:256
	global_load_dwordx4 v[18:21], v22, s[8:9] offset:272
	v_mul_lo_u16_e32 v22, 18, v9
	v_sub_u16_e32 v38, v60, v22
	v_lshlrev_b32_sdwa v30, v7, v38 dst_sel:DWORD dst_unused:UNUSED_PAD src0_sel:DWORD src1_sel:BYTE_0
	global_load_dwordx4 v[22:25], v30, s[8:9] offset:256
	global_load_dwordx4 v[26:29], v30, s[8:9] offset:272
	v_mul_u32_u24_sdwa v30, v63, s6 dst_sel:DWORD dst_unused:UNUSED_PAD src0_sel:WORD_0 src1_sel:DWORD
	v_lshrrev_b32_e32 v39, 20, v30
	v_mul_lo_u16_e32 v30, 18, v39
	v_sub_u16_e32 v40, v63, v30
	v_lshlrev_b32_e32 v41, 5, v40
	global_load_dwordx4 v[30:33], v41, s[8:9] offset:256
	global_load_dwordx4 v[34:37], v41, s[8:9] offset:272
	v_mul_u32_u24_e32 v10, 0x360, v10
	v_mul_u32_u24_e32 v9, 0x360, v9
	;; [unrolled: 1-line block ×3, first 2 shown]
	v_lshlrev_b32_sdwa v11, v8, v11 dst_sel:DWORD dst_unused:UNUSED_PAD src0_sel:DWORD src1_sel:BYTE_0
	v_lshlrev_b32_sdwa v38, v8, v38 dst_sel:DWORD dst_unused:UNUSED_PAD src0_sel:DWORD src1_sel:BYTE_0
	v_lshlrev_b32_e32 v40, 4, v40
	v_add3_u32 v11, 0, v10, v11
	v_add3_u32 v96, 0, v9, v38
	v_add3_u32 v97, 0, v39, v40
	ds_read_b128 v[38:41], v5
	ds_read_b128 v[42:45], v6
	ds_read_b128 v[46:49], v65 offset:12096
	ds_read_b128 v[50:53], v65 offset:10080
	;; [unrolled: 1-line block ×5, first 2 shown]
	ds_read_b128 v[80:83], v65
	ds_read_b128 v[84:87], v4
	s_waitcnt vmcnt(0) lgkmcnt(0)
	s_barrier
	v_mul_f64 v[9:10], v[40:41], v[16:17]
	v_mul_f64 v[16:17], v[38:39], v[16:17]
	v_mul_f64 v[54:55], v[48:49], v[20:21]
	v_mul_f64 v[20:21], v[46:47], v[20:21]
	v_mul_f64 v[88:89], v[78:79], v[24:25]
	v_mul_f64 v[24:25], v[76:77], v[24:25]
	v_mul_f64 v[90:91], v[70:71], v[28:29]
	v_mul_f64 v[28:29], v[68:69], v[28:29]
	v_fma_f64 v[9:10], v[38:39], v[14:15], v[9:10]
	v_fma_f64 v[14:15], v[40:41], v[14:15], -v[16:17]
	v_mul_f64 v[92:93], v[52:53], v[32:33]
	v_mul_f64 v[32:33], v[50:51], v[32:33]
	;; [unrolled: 1-line block ×4, first 2 shown]
	v_fma_f64 v[38:39], v[46:47], v[18:19], v[54:55]
	v_fma_f64 v[16:17], v[48:49], v[18:19], -v[20:21]
	v_fma_f64 v[18:19], v[76:77], v[22:23], v[88:89]
	v_fma_f64 v[20:21], v[78:79], v[22:23], -v[24:25]
	;; [unrolled: 2-line block ×5, first 2 shown]
	v_add_f64 v[34:35], v[9:10], v[38:39]
	v_add_f64 v[36:37], v[14:15], v[16:17]
	;; [unrolled: 1-line block ×8, first 2 shown]
	v_add_f64 v[48:49], v[14:15], -v[16:17]
	v_add_f64 v[9:10], v[9:10], -v[38:39]
	v_add_f64 v[68:69], v[42:43], v[18:19]
	v_add_f64 v[78:79], v[86:87], v[28:29]
	v_add_f64 v[88:89], v[84:85], v[26:27]
	v_add_f64 v[90:91], v[28:29], -v[32:33]
	v_fma_f64 v[28:29], v[34:35], -0.5, v[80:81]
	v_fma_f64 v[34:35], v[36:37], -0.5, v[82:83]
	v_add_f64 v[54:55], v[44:45], v[20:21]
	v_add_f64 v[70:71], v[20:21], -v[24:25]
	v_add_f64 v[72:73], v[18:19], -v[22:23]
	v_add_f64 v[16:17], v[40:41], v[16:17]
	v_fma_f64 v[36:37], v[50:51], -0.5, v[42:43]
	v_fma_f64 v[40:41], v[52:53], -0.5, v[44:45]
	v_add_f64 v[92:93], v[26:27], -v[30:31]
	v_fma_f64 v[44:45], v[74:75], -0.5, v[84:85]
	v_fma_f64 v[50:51], v[76:77], -0.5, v[86:87]
	v_add_f64 v[14:15], v[46:47], v[38:39]
	v_add_f64 v[18:19], v[68:69], v[22:23]
	;; [unrolled: 1-line block ×3, first 2 shown]
	v_fma_f64 v[26:27], v[48:49], s[2:3], v[28:29]
	v_fma_f64 v[30:31], v[48:49], s[4:5], v[28:29]
	;; [unrolled: 1-line block ×3, first 2 shown]
	v_add_f64 v[20:21], v[54:55], v[24:25]
	v_add_f64 v[24:25], v[78:79], v[32:33]
	v_fma_f64 v[32:33], v[9:10], s[2:3], v[34:35]
	v_fma_f64 v[34:35], v[70:71], s[2:3], v[36:37]
	;; [unrolled: 1-line block ×5, first 2 shown]
	v_mov_b32_e32 v9, 19
	v_mul_lo_u16_sdwa v10, v56, v9 dst_sel:DWORD dst_unused:UNUSED_PAD src0_sel:BYTE_0 src1_sel:DWORD
	v_fma_f64 v[42:43], v[90:91], s[2:3], v[44:45]
	v_fma_f64 v[46:47], v[90:91], s[4:5], v[44:45]
	;; [unrolled: 1-line block ×3, first 2 shown]
	v_lshrrev_b16_e32 v10, 10, v10
	v_fma_f64 v[48:49], v[92:93], s[2:3], v[50:51]
	ds_write_b128 v11, v[14:17]
	ds_write_b128 v11, v[26:29] offset:288
	ds_write_b128 v11, v[30:33] offset:576
	ds_write_b128 v96, v[18:21]
	ds_write_b128 v96, v[34:37] offset:288
	ds_write_b128 v96, v[38:41] offset:576
	;; [unrolled: 3-line block ×3, first 2 shown]
	v_mul_lo_u16_e32 v11, 54, v10
	v_sub_u16_e32 v11, v56, v11
	v_mul_lo_u16_sdwa v9, v60, v9 dst_sel:DWORD dst_unused:UNUSED_PAD src0_sel:BYTE_0 src1_sel:DWORD
	v_lshlrev_b32_sdwa v22, v7, v11 dst_sel:DWORD dst_unused:UNUSED_PAD src0_sel:DWORD src1_sel:BYTE_0
	v_lshrrev_b16_e32 v9, 10, v9
	s_waitcnt lgkmcnt(0)
	s_barrier
	global_load_dwordx4 v[14:17], v22, s[8:9] offset:832
	global_load_dwordx4 v[18:21], v22, s[8:9] offset:848
	v_mul_lo_u16_e32 v22, 54, v9
	v_sub_u16_e32 v38, v60, v22
	v_lshlrev_b32_sdwa v7, v7, v38 dst_sel:DWORD dst_unused:UNUSED_PAD src0_sel:DWORD src1_sel:BYTE_0
	global_load_dwordx4 v[22:25], v7, s[8:9] offset:832
	global_load_dwordx4 v[26:29], v7, s[8:9] offset:848
	v_lshrrev_b16_e32 v7, 1, v63
	v_mul_u32_u24_e32 v7, 0x97b5, v7
	v_lshrrev_b32_e32 v7, 20, v7
	v_mul_lo_u16_e32 v30, 54, v7
	v_sub_u16_e32 v39, v63, v30
	v_lshlrev_b32_e32 v40, 5, v39
	global_load_dwordx4 v[30:33], v40, s[8:9] offset:832
	global_load_dwordx4 v[34:37], v40, s[8:9] offset:848
	v_mul_u32_u24_e32 v10, 0xa20, v10
	v_mul_u32_u24_e32 v9, 0xa20, v9
	;; [unrolled: 1-line block ×3, first 2 shown]
	v_lshlrev_b32_sdwa v11, v8, v11 dst_sel:DWORD dst_unused:UNUSED_PAD src0_sel:DWORD src1_sel:BYTE_0
	v_lshlrev_b32_sdwa v8, v8, v38 dst_sel:DWORD dst_unused:UNUSED_PAD src0_sel:DWORD src1_sel:BYTE_0
	v_lshlrev_b32_e32 v38, 4, v39
	v_add3_u32 v92, 0, v10, v11
	v_add3_u32 v93, 0, v9, v8
	;; [unrolled: 1-line block ×3, first 2 shown]
	ds_read_b128 v[7:10], v5
	ds_read_b128 v[38:41], v6
	ds_read_b128 v[42:45], v65 offset:12096
	ds_read_b128 v[46:49], v65 offset:10080
	;; [unrolled: 1-line block ×5, first 2 shown]
	ds_read_b128 v[76:79], v65
	ds_read_b128 v[80:83], v4
	s_waitcnt vmcnt(0) lgkmcnt(0)
	s_barrier
	v_mul_f64 v[4:5], v[9:10], v[16:17]
	v_mul_f64 v[16:17], v[7:8], v[16:17]
	;; [unrolled: 1-line block ×8, first 2 shown]
	v_fma_f64 v[4:5], v[7:8], v[14:15], v[4:5]
	v_fma_f64 v[6:7], v[9:10], v[14:15], -v[16:17]
	v_fma_f64 v[8:9], v[42:43], v[18:19], v[54:55]
	v_mul_f64 v[88:89], v[48:49], v[32:33]
	v_mul_f64 v[32:33], v[46:47], v[32:33]
	;; [unrolled: 1-line block ×4, first 2 shown]
	v_fma_f64 v[10:11], v[44:45], v[18:19], -v[20:21]
	v_fma_f64 v[14:15], v[72:73], v[22:23], v[84:85]
	v_fma_f64 v[16:17], v[74:75], v[22:23], -v[24:25]
	v_fma_f64 v[18:19], v[50:51], v[26:27], v[86:87]
	v_fma_f64 v[20:21], v[52:53], v[26:27], -v[28:29]
	v_fma_f64 v[22:23], v[46:47], v[30:31], v[88:89]
	v_fma_f64 v[24:25], v[48:49], v[30:31], -v[32:33]
	v_fma_f64 v[26:27], v[68:69], v[34:35], v[90:91]
	v_fma_f64 v[28:29], v[70:71], v[34:35], -v[36:37]
	v_add_f64 v[30:31], v[4:5], v[8:9]
	v_add_f64 v[32:33], v[6:7], v[10:11]
	;; [unrolled: 1-line block ×8, first 2 shown]
	v_add_f64 v[6:7], v[6:7], -v[10:11]
	v_add_f64 v[4:5], v[4:5], -v[8:9]
	v_add_f64 v[52:53], v[82:83], v[24:25]
	v_add_f64 v[54:55], v[80:81], v[22:23]
	v_fma_f64 v[30:31], v[30:31], -0.5, v[76:77]
	v_fma_f64 v[32:33], v[32:33], -0.5, v[78:79]
	v_add_f64 v[46:47], v[38:39], v[14:15]
	v_add_f64 v[48:49], v[40:41], v[16:17]
	v_add_f64 v[50:51], v[16:17], -v[20:21]
	v_add_f64 v[68:69], v[14:15], -v[18:19]
	v_fma_f64 v[38:39], v[42:43], -0.5, v[38:39]
	v_fma_f64 v[40:41], v[44:45], -0.5, v[40:41]
	v_add_f64 v[70:71], v[24:25], -v[28:29]
	v_add_f64 v[84:85], v[22:23], -v[26:27]
	v_add_f64 v[16:17], v[36:37], v[10:11]
	v_add_f64 v[14:15], v[34:35], v[8:9]
	v_fma_f64 v[8:9], v[74:75], -0.5, v[80:81]
	v_fma_f64 v[10:11], v[72:73], -0.5, v[82:83]
	v_add_f64 v[24:25], v[52:53], v[28:29]
	v_add_f64 v[22:23], v[54:55], v[26:27]
	v_fma_f64 v[26:27], v[6:7], s[2:3], v[30:31]
	v_fma_f64 v[28:29], v[4:5], s[4:5], v[32:33]
	v_fma_f64 v[30:31], v[6:7], s[4:5], v[30:31]
	v_fma_f64 v[32:33], v[4:5], s[2:3], v[32:33]
	v_add_f64 v[20:21], v[48:49], v[20:21]
	v_add_f64 v[18:19], v[46:47], v[18:19]
	v_fma_f64 v[34:35], v[50:51], s[2:3], v[38:39]
	v_fma_f64 v[36:37], v[68:69], s[4:5], v[40:41]
	;; [unrolled: 1-line block ×8, first 2 shown]
	ds_write_b128 v92, v[14:17]
	ds_write_b128 v92, v[26:29] offset:864
	ds_write_b128 v92, v[30:33] offset:1728
	ds_write_b128 v93, v[18:21]
	ds_write_b128 v93, v[34:37] offset:864
	ds_write_b128 v93, v[38:41] offset:1728
	;; [unrolled: 3-line block ×3, first 2 shown]
	s_waitcnt lgkmcnt(0)
	s_barrier
	ds_read_b128 v[28:31], v65
	ds_read_b128 v[48:51], v65 offset:2592
	ds_read_b128 v[44:47], v65 offset:5184
	;; [unrolled: 1-line block ×6, first 2 shown]
	v_cmp_gt_u32_e64 s[2:3], 36, v56
	v_add_u32_e32 v68, v12, v13
                                        ; implicit-def: $vgpr26_vgpr27
                                        ; implicit-def: $vgpr22_vgpr23
                                        ; implicit-def: $vgpr18_vgpr19
                                        ; implicit-def: $vgpr14_vgpr15
	s_and_saveexec_b64 s[4:5], s[2:3]
	s_cbranch_execz .LBB0_17
; %bb.16:
	ds_read_b128 v[4:7], v68
	ds_read_b128 v[8:11], v65 offset:4608
	ds_read_b128 v[0:3], v65 offset:7200
	;; [unrolled: 1-line block ×6, first 2 shown]
.LBB0_17:
	s_or_b64 exec, exec, s[4:5]
	v_mul_u32_u24_e32 v69, 6, v56
	v_lshlrev_b32_e32 v93, 4, v69
	global_load_dwordx4 v[69:72], v93, s[8:9] offset:2560
	global_load_dwordx4 v[73:76], v93, s[8:9] offset:2576
	;; [unrolled: 1-line block ×6, first 2 shown]
	s_mov_b32 s10, 0x37e14327
	s_mov_b32 s14, 0x36b3c0b5
	;; [unrolled: 1-line block ×20, first 2 shown]
	s_waitcnt vmcnt(0) lgkmcnt(0)
	s_barrier
	v_mul_f64 v[93:94], v[50:51], v[71:72]
	v_mul_f64 v[71:72], v[48:49], v[71:72]
	;; [unrolled: 1-line block ×12, first 2 shown]
	v_fma_f64 v[48:49], v[48:49], v[69:70], v[93:94]
	v_fma_f64 v[50:51], v[50:51], v[69:70], -v[71:72]
	v_fma_f64 v[44:45], v[44:45], v[73:74], v[95:96]
	v_fma_f64 v[46:47], v[46:47], v[73:74], -v[75:76]
	v_fma_f64 v[52:53], v[52:53], v[85:86], v[101:102]
	v_fma_f64 v[54:55], v[54:55], v[85:86], -v[87:88]
	v_fma_f64 v[40:41], v[40:41], v[89:90], v[103:104]
	v_fma_f64 v[42:43], v[42:43], v[89:90], -v[91:92]
	v_fma_f64 v[36:37], v[36:37], v[77:78], v[97:98]
	v_fma_f64 v[38:39], v[38:39], v[77:78], -v[79:80]
	v_fma_f64 v[32:33], v[32:33], v[81:82], v[99:100]
	v_fma_f64 v[34:35], v[34:35], v[81:82], -v[83:84]
	v_add_f64 v[69:70], v[48:49], v[52:53]
	v_add_f64 v[71:72], v[50:51], v[54:55]
	v_add_f64 v[48:49], v[48:49], -v[52:53]
	v_add_f64 v[50:51], v[50:51], -v[54:55]
	v_add_f64 v[52:53], v[44:45], v[40:41]
	v_add_f64 v[54:55], v[46:47], v[42:43]
	v_add_f64 v[40:41], v[44:45], -v[40:41]
	v_add_f64 v[42:43], v[46:47], -v[42:43]
	;; [unrolled: 4-line block ×4, first 2 shown]
	v_add_f64 v[69:70], v[69:70], -v[44:45]
	v_add_f64 v[71:72], v[71:72], -v[46:47]
	v_add_f64 v[52:53], v[44:45], -v[52:53]
	v_add_f64 v[54:55], v[46:47], -v[54:55]
	v_add_f64 v[77:78], v[32:33], v[40:41]
	v_add_f64 v[79:80], v[34:35], v[42:43]
	v_add_f64 v[81:82], v[32:33], -v[40:41]
	v_add_f64 v[83:84], v[34:35], -v[42:43]
	v_add_f64 v[36:37], v[44:45], v[36:37]
	v_add_f64 v[38:39], v[46:47], v[38:39]
	v_add_f64 v[40:41], v[40:41], -v[48:49]
	v_add_f64 v[42:43], v[42:43], -v[50:51]
	;; [unrolled: 1-line block ×4, first 2 shown]
	v_add_f64 v[44:45], v[77:78], v[48:49]
	v_add_f64 v[46:47], v[79:80], v[50:51]
	v_mul_f64 v[48:49], v[69:70], s[10:11]
	v_mul_f64 v[50:51], v[71:72], s[10:11]
	;; [unrolled: 1-line block ×6, first 2 shown]
	v_add_f64 v[28:29], v[28:29], v[36:37]
	v_add_f64 v[30:31], v[30:31], v[38:39]
	v_mul_f64 v[81:82], v[40:41], s[4:5]
	v_mul_f64 v[83:84], v[42:43], s[4:5]
	v_fma_f64 v[52:53], v[52:53], s[14:15], v[48:49]
	v_fma_f64 v[54:55], v[54:55], s[14:15], v[50:51]
	v_fma_f64 v[69:70], v[73:74], s[16:17], -v[69:70]
	v_fma_f64 v[71:72], v[75:76], s[16:17], -v[71:72]
	;; [unrolled: 1-line block ×4, first 2 shown]
	v_fma_f64 v[73:74], v[32:33], s[24:25], v[77:78]
	v_fma_f64 v[75:76], v[34:35], s[24:25], v[79:80]
	;; [unrolled: 1-line block ×4, first 2 shown]
	v_fma_f64 v[32:33], v[32:33], s[26:27], -v[81:82]
	v_fma_f64 v[34:35], v[34:35], s[26:27], -v[83:84]
	;; [unrolled: 1-line block ×4, first 2 shown]
	v_fma_f64 v[73:74], v[44:45], s[20:21], v[73:74]
	v_fma_f64 v[75:76], v[46:47], s[20:21], v[75:76]
	v_add_f64 v[52:53], v[52:53], v[36:37]
	v_add_f64 v[54:55], v[54:55], v[38:39]
	v_fma_f64 v[81:82], v[44:45], s[20:21], v[32:33]
	v_fma_f64 v[83:84], v[46:47], s[20:21], v[34:35]
	v_add_f64 v[48:49], v[48:49], v[36:37]
	v_add_f64 v[50:51], v[50:51], v[38:39]
	;; [unrolled: 4-line block ×3, first 2 shown]
	v_add_f64 v[32:33], v[75:76], v[52:53]
	v_add_f64 v[34:35], v[54:55], -v[73:74]
	v_add_f64 v[36:37], v[83:84], v[48:49]
	v_add_f64 v[38:39], v[50:51], -v[81:82]
	v_add_f64 v[48:49], v[48:49], -v[83:84]
	v_add_f64 v[50:51], v[81:82], v[50:51]
	v_add_f64 v[40:41], v[44:45], -v[79:80]
	v_add_f64 v[42:43], v[77:78], v[46:47]
	v_add_f64 v[44:45], v[79:80], v[44:45]
	v_add_f64 v[46:47], v[46:47], -v[77:78]
	v_add_f64 v[52:53], v[52:53], -v[75:76]
	v_add_f64 v[54:55], v[73:74], v[54:55]
	ds_write_b128 v65, v[28:31]
	ds_write_b128 v65, v[32:35] offset:2592
	ds_write_b128 v65, v[36:39] offset:5184
	;; [unrolled: 1-line block ×6, first 2 shown]
	s_and_saveexec_b64 s[28:29], s[2:3]
	s_cbranch_execz .LBB0_19
; %bb.18:
	v_subrev_u32_e32 v28, 36, v56
	v_cndmask_b32_e64 v28, v28, v60, s[2:3]
	v_mul_i32_i24_e32 v28, 6, v28
	v_mov_b32_e32 v29, 0
	v_lshlrev_b64 v[28:29], 4, v[28:29]
	v_mov_b32_e32 v30, s9
	v_add_co_u32_e64 v52, s[2:3], s8, v28
	v_addc_co_u32_e64 v53, s[2:3], v30, v29, s[2:3]
	global_load_dwordx4 v[28:31], v[52:53], off offset:2608
	global_load_dwordx4 v[32:35], v[52:53], off offset:2592
	;; [unrolled: 1-line block ×6, first 2 shown]
	s_waitcnt vmcnt(5)
	v_mul_f64 v[52:53], v[18:19], v[30:31]
	s_waitcnt vmcnt(4)
	v_mul_f64 v[54:55], v[14:15], v[34:35]
	;; [unrolled: 2-line block ×6, first 2 shown]
	v_mul_f64 v[38:39], v[0:1], v[38:39]
	v_mul_f64 v[42:43], v[20:21], v[42:43]
	;; [unrolled: 1-line block ×6, first 2 shown]
	v_fma_f64 v[0:1], v[0:1], v[36:37], v[69:70]
	v_fma_f64 v[20:21], v[20:21], v[40:41], v[71:72]
	v_fma_f64 v[8:9], v[8:9], v[44:45], v[73:74]
	v_fma_f64 v[24:25], v[24:25], v[48:49], v[75:76]
	v_fma_f64 v[2:3], v[2:3], v[36:37], -v[38:39]
	v_fma_f64 v[22:23], v[22:23], v[40:41], -v[42:43]
	;; [unrolled: 1-line block ×4, first 2 shown]
	v_fma_f64 v[16:17], v[16:17], v[28:29], v[52:53]
	v_fma_f64 v[12:13], v[12:13], v[32:33], v[54:55]
	v_fma_f64 v[14:15], v[14:15], v[32:33], -v[34:35]
	v_fma_f64 v[18:19], v[18:19], v[28:29], -v[30:31]
	v_add_f64 v[30:31], v[0:1], -v[20:21]
	v_add_f64 v[32:33], v[8:9], -v[24:25]
	v_add_f64 v[36:37], v[2:3], v[22:23]
	v_add_f64 v[38:39], v[10:11], v[26:27]
	;; [unrolled: 1-line block ×4, first 2 shown]
	v_add_f64 v[28:29], v[16:17], -v[12:13]
	v_add_f64 v[34:35], v[14:15], v[18:19]
	v_add_f64 v[12:13], v[12:13], v[16:17]
	v_add_f64 v[14:15], v[18:19], -v[14:15]
	v_add_f64 v[2:3], v[2:3], -v[22:23]
	;; [unrolled: 1-line block ×3, first 2 shown]
	v_add_f64 v[26:27], v[36:37], v[38:39]
	v_add_f64 v[42:43], v[0:1], v[8:9]
	;; [unrolled: 1-line block ×3, first 2 shown]
	v_add_f64 v[18:19], v[28:29], -v[30:31]
	v_add_f64 v[20:21], v[32:33], -v[28:29]
	;; [unrolled: 1-line block ×6, first 2 shown]
	v_add_f64 v[26:27], v[34:35], v[26:27]
	v_add_f64 v[12:13], v[12:13], v[42:43]
	v_add_f64 v[22:23], v[34:35], -v[36:37]
	v_add_f64 v[44:45], v[14:15], v[2:3]
	v_add_f64 v[30:31], v[30:31], -v[32:33]
	v_add_f64 v[36:37], v[36:37], -v[38:39]
	;; [unrolled: 1-line block ×5, first 2 shown]
	v_mul_f64 v[18:19], v[18:19], s[18:19]
	v_mul_f64 v[24:25], v[24:25], s[10:11]
	;; [unrolled: 1-line block ×4, first 2 shown]
	v_add_f64 v[2:3], v[6:7], v[26:27]
	v_add_f64 v[0:1], v[4:5], v[12:13]
	;; [unrolled: 1-line block ×3, first 2 shown]
	v_mul_f64 v[32:33], v[22:23], s[14:15]
	v_add_f64 v[10:11], v[44:45], v[10:11]
	v_mul_f64 v[44:45], v[30:31], s[4:5]
	v_mul_f64 v[46:47], v[38:39], s[4:5]
	;; [unrolled: 1-line block ×3, first 2 shown]
	v_fma_f64 v[48:49], v[20:21], s[24:25], v[18:19]
	v_fma_f64 v[22:23], v[22:23], s[14:15], v[24:25]
	;; [unrolled: 1-line block ×6, first 2 shown]
	v_fma_f64 v[20:21], v[20:21], s[26:27], -v[44:45]
	v_fma_f64 v[24:25], v[36:37], s[22:23], -v[24:25]
	v_fma_f64 v[28:29], v[8:9], s[22:23], -v[40:41]
	v_fma_f64 v[14:15], v[14:15], s[26:27], -v[46:47]
	v_fma_f64 v[32:33], v[36:37], s[16:17], -v[32:33]
	v_fma_f64 v[18:19], v[30:31], s[4:5], -v[18:19]
	v_fma_f64 v[30:31], v[38:39], s[4:5], -v[42:43]
	v_fma_f64 v[8:9], v[8:9], s[16:17], -v[34:35]
	v_fma_f64 v[34:35], v[16:17], s[20:21], v[48:49]
	v_fma_f64 v[4:5], v[10:11], s[20:21], v[4:5]
	v_add_f64 v[36:37], v[22:23], v[26:27]
	v_add_f64 v[38:39], v[6:7], v[12:13]
	v_fma_f64 v[20:21], v[16:17], s[20:21], v[20:21]
	v_fma_f64 v[16:17], v[16:17], s[20:21], v[18:19]
	v_add_f64 v[22:23], v[24:25], v[26:27]
	v_add_f64 v[18:19], v[32:33], v[26:27]
	v_fma_f64 v[32:33], v[10:11], s[20:21], v[14:15]
	v_add_f64 v[28:29], v[28:29], v[12:13]
	v_fma_f64 v[30:31], v[10:11], s[20:21], v[30:31]
	v_add_f64 v[8:9], v[8:9], v[12:13]
	v_add_f64 v[26:27], v[36:37], -v[34:35]
	v_add_f64 v[24:25], v[4:5], v[38:39]
	v_add_f64 v[10:11], v[20:21], v[22:23]
	v_add_f64 v[22:23], v[22:23], -v[20:21]
	v_add_f64 v[14:15], v[18:19], -v[16:17]
	v_add_f64 v[20:21], v[32:33], v[28:29]
	v_add_f64 v[18:19], v[16:17], v[18:19]
	v_add_f64 v[16:17], v[8:9], -v[30:31]
	v_add_f64 v[12:13], v[30:31], v[8:9]
	v_add_f64 v[8:9], v[28:29], -v[32:33]
	;; [unrolled: 2-line block ×3, first 2 shown]
	ds_write_b128 v65, v[0:3] offset:2016
	ds_write_b128 v65, v[24:27] offset:4608
	;; [unrolled: 1-line block ×7, first 2 shown]
.LBB0_19:
	s_or_b64 exec, exec, s[28:29]
	s_waitcnt lgkmcnt(0)
	s_barrier
	ds_read_b128 v[0:3], v65
	s_add_u32 s6, s8, 0x46c0
	s_addc_u32 s7, s9, 0
	v_sub_u32_e32 v8, 0, v57
	v_cmp_ne_u32_e64 s[2:3], 0, v56
                                        ; implicit-def: $vgpr6_vgpr7
                                        ; implicit-def: $vgpr4_vgpr5
	s_and_saveexec_b64 s[4:5], s[2:3]
	s_xor_b64 s[4:5], exec, s[4:5]
	s_cbranch_execz .LBB0_21
; %bb.20:
	v_mov_b32_e32 v57, 0
	v_lshlrev_b64 v[4:5], 4, v[56:57]
	v_mov_b32_e32 v6, s7
	v_add_co_u32_e64 v4, s[2:3], s6, v4
	v_addc_co_u32_e64 v5, s[2:3], v6, v5, s[2:3]
	global_load_dwordx4 v[9:12], v[4:5], off
	ds_read_b128 v[4:7], v8 offset:18144
	s_waitcnt lgkmcnt(0)
	v_add_f64 v[13:14], v[0:1], -v[4:5]
	v_add_f64 v[15:16], v[2:3], v[6:7]
	v_add_f64 v[2:3], v[2:3], -v[6:7]
	v_add_f64 v[0:1], v[0:1], v[4:5]
	v_mul_f64 v[6:7], v[13:14], 0.5
	v_mul_f64 v[13:14], v[15:16], 0.5
	;; [unrolled: 1-line block ×3, first 2 shown]
	s_waitcnt vmcnt(0)
	v_mul_f64 v[4:5], v[6:7], v[11:12]
	v_fma_f64 v[15:16], v[13:14], v[11:12], v[2:3]
	v_fma_f64 v[2:3], v[13:14], v[11:12], -v[2:3]
	v_fma_f64 v[11:12], v[0:1], 0.5, v[4:5]
	v_fma_f64 v[0:1], v[0:1], 0.5, -v[4:5]
	v_fma_f64 v[15:16], -v[9:10], v[6:7], v[15:16]
	v_fma_f64 v[2:3], -v[9:10], v[6:7], v[2:3]
	ds_write_b64 v65, v[15:16] offset:8
	ds_write_b64 v8, v[2:3] offset:18152
	v_fma_f64 v[4:5], v[13:14], v[9:10], v[11:12]
	v_fma_f64 v[6:7], -v[13:14], v[9:10], v[0:1]
                                        ; implicit-def: $vgpr0_vgpr1
.LBB0_21:
	s_or_saveexec_b64 s[2:3], s[4:5]
	v_sub_u32_e32 v9, 0, v61
	v_sub_u32_e32 v10, 0, v64
	s_xor_b64 exec, exec, s[2:3]
	s_cbranch_execz .LBB0_23
; %bb.22:
	s_mov_b32 s4, 0
	s_mov_b32 s5, s4
	v_mov_b32_e32 v12, s5
	s_waitcnt lgkmcnt(0)
	v_add_f64 v[4:5], v[0:1], v[2:3]
	v_mov_b32_e32 v11, s4
	v_add_f64 v[6:7], v[0:1], -v[2:3]
	ds_write_b64 v65, v[11:12] offset:8
	ds_write_b64 v8, v[11:12] offset:18152
	v_mov_b32_e32 v2, 0
	ds_read_b64 v[0:1], v2 offset:9080
	s_waitcnt lgkmcnt(0)
	v_xor_b32_e32 v1, 0x80000000, v1
	ds_write_b64 v2, v[0:1] offset:9080
.LBB0_23:
	s_or_b64 exec, exec, s[2:3]
	v_mov_b32_e32 v61, 0
	s_waitcnt lgkmcnt(0)
	v_lshlrev_b64 v[0:1], 4, v[60:61]
	v_mov_b32_e32 v2, s7
	v_add_co_u32_e64 v0, s[2:3], s6, v0
	v_addc_co_u32_e64 v1, s[2:3], v2, v1, s[2:3]
	global_load_dwordx4 v[0:3], v[0:1], off
	v_mov_b32_e32 v64, v61
	v_lshlrev_b64 v[11:12], 4, v[63:64]
	v_mov_b32_e32 v13, s7
	v_add_co_u32_e64 v11, s[2:3], s6, v11
	v_addc_co_u32_e64 v12, s[2:3], v13, v12, s[2:3]
	global_load_dwordx4 v[11:14], v[11:12], off
	ds_write_b64 v65, v[4:5]
	ds_write_b64 v8, v[6:7] offset:18144
	ds_read_b128 v[4:7], v68
	ds_read_b128 v[15:18], v8 offset:16128
	v_mov_b32_e32 v63, v61
	v_mov_b32_e32 v29, s7
	v_add_u32_e32 v10, v67, v10
	s_waitcnt lgkmcnt(0)
	v_add_f64 v[19:20], v[4:5], -v[15:16]
	v_add_f64 v[21:22], v[6:7], v[17:18]
	v_add_f64 v[6:7], v[6:7], -v[17:18]
	v_add_f64 v[4:5], v[4:5], v[15:16]
	v_lshlrev_b64 v[17:18], 4, v[62:63]
	v_mul_f64 v[19:20], v[19:20], 0.5
	v_mul_f64 v[23:24], v[21:22], 0.5
	;; [unrolled: 1-line block ×3, first 2 shown]
	s_waitcnt vmcnt(1)
	v_mul_f64 v[15:16], v[19:20], v[2:3]
	v_fma_f64 v[21:22], v[23:24], v[2:3], v[6:7]
	v_fma_f64 v[6:7], v[23:24], v[2:3], -v[6:7]
	v_add_co_u32_e64 v2, s[2:3], s6, v17
	v_addc_co_u32_e64 v3, s[2:3], v29, v18, s[2:3]
	v_fma_f64 v[25:26], v[4:5], 0.5, v[15:16]
	v_fma_f64 v[27:28], v[4:5], 0.5, -v[15:16]
	global_load_dwordx4 v[2:5], v[2:3], off
	v_fma_f64 v[17:18], -v[0:1], v[19:20], v[21:22]
	v_fma_f64 v[21:22], -v[0:1], v[19:20], v[6:7]
	v_fma_f64 v[15:16], v[23:24], v[0:1], v[25:26]
	v_fma_f64 v[19:20], -v[23:24], v[0:1], v[27:28]
	ds_write_b128 v68, v[15:18]
	ds_write_b128 v8, v[19:22] offset:16128
	ds_read_b128 v[15:18], v10
	ds_read_b128 v[19:22], v8 offset:14112
	s_waitcnt lgkmcnt(0)
	v_add_f64 v[0:1], v[15:16], -v[19:20]
	v_add_f64 v[6:7], v[17:18], v[21:22]
	v_add_f64 v[17:18], v[17:18], -v[21:22]
	v_add_f64 v[15:16], v[15:16], v[19:20]
	v_mul_f64 v[0:1], v[0:1], 0.5
	v_mul_f64 v[6:7], v[6:7], 0.5
	;; [unrolled: 1-line block ×3, first 2 shown]
	s_waitcnt vmcnt(1)
	v_mul_f64 v[19:20], v[0:1], v[13:14]
	v_fma_f64 v[21:22], v[6:7], v[13:14], v[17:18]
	v_fma_f64 v[13:14], v[6:7], v[13:14], -v[17:18]
	v_fma_f64 v[17:18], v[15:16], 0.5, v[19:20]
	v_fma_f64 v[23:24], v[15:16], 0.5, -v[19:20]
	v_fma_f64 v[15:16], -v[11:12], v[0:1], v[21:22]
	v_fma_f64 v[19:20], -v[11:12], v[0:1], v[13:14]
	v_add_u32_e32 v21, v66, v9
	v_fma_f64 v[13:14], v[6:7], v[11:12], v[17:18]
	v_fma_f64 v[17:18], -v[6:7], v[11:12], v[23:24]
	ds_write_b128 v10, v[13:16]
	ds_write_b128 v8, v[17:20] offset:14112
	ds_read_b128 v[9:12], v21
	ds_read_b128 v[13:16], v8 offset:12096
	s_waitcnt lgkmcnt(0)
	v_add_f64 v[0:1], v[9:10], -v[13:14]
	v_add_f64 v[6:7], v[11:12], v[15:16]
	v_add_f64 v[11:12], v[11:12], -v[15:16]
	v_add_f64 v[9:10], v[9:10], v[13:14]
	v_mul_f64 v[0:1], v[0:1], 0.5
	v_mul_f64 v[15:16], v[6:7], 0.5
	;; [unrolled: 1-line block ×3, first 2 shown]
	s_waitcnt vmcnt(0)
	v_mul_f64 v[11:12], v[0:1], v[4:5]
	v_fma_f64 v[13:14], v[15:16], v[4:5], v[6:7]
	v_fma_f64 v[4:5], v[15:16], v[4:5], -v[6:7]
	v_fma_f64 v[17:18], v[9:10], 0.5, v[11:12]
	v_fma_f64 v[9:10], v[9:10], 0.5, -v[11:12]
	v_fma_f64 v[6:7], -v[2:3], v[0:1], v[13:14]
	v_fma_f64 v[11:12], -v[2:3], v[0:1], v[4:5]
	v_fma_f64 v[4:5], v[15:16], v[2:3], v[17:18]
	v_fma_f64 v[9:10], -v[15:16], v[2:3], v[9:10]
	ds_write_b128 v21, v[4:7]
	ds_write_b128 v8, v[9:12] offset:12096
	s_and_saveexec_b64 s[2:3], vcc
	s_cbranch_execz .LBB0_25
; %bb.24:
	v_add_u32_e32 v60, 0x1f8, v56
	v_lshlrev_b64 v[0:1], 4, v[60:61]
	v_mov_b32_e32 v2, s7
	v_add_co_u32_e32 v0, vcc, s6, v0
	v_addc_co_u32_e32 v1, vcc, v2, v1, vcc
	global_load_dwordx4 v[0:3], v[0:1], off
	ds_read_b128 v[4:7], v65 offset:8064
	ds_read_b128 v[9:12], v8 offset:10080
	s_waitcnt lgkmcnt(0)
	v_add_f64 v[13:14], v[4:5], -v[9:10]
	v_add_f64 v[15:16], v[6:7], v[11:12]
	v_add_f64 v[6:7], v[6:7], -v[11:12]
	v_add_f64 v[4:5], v[4:5], v[9:10]
	v_mul_f64 v[11:12], v[13:14], 0.5
	v_mul_f64 v[13:14], v[15:16], 0.5
	;; [unrolled: 1-line block ×3, first 2 shown]
	s_waitcnt vmcnt(0)
	v_mul_f64 v[9:10], v[11:12], v[2:3]
	v_fma_f64 v[15:16], v[13:14], v[2:3], v[6:7]
	v_fma_f64 v[2:3], v[13:14], v[2:3], -v[6:7]
	v_fma_f64 v[6:7], v[4:5], 0.5, v[9:10]
	v_fma_f64 v[9:10], v[4:5], 0.5, -v[9:10]
	v_fma_f64 v[4:5], -v[0:1], v[11:12], v[15:16]
	v_fma_f64 v[11:12], -v[0:1], v[11:12], v[2:3]
	v_fma_f64 v[2:3], v[13:14], v[0:1], v[6:7]
	v_fma_f64 v[9:10], -v[13:14], v[0:1], v[9:10]
	ds_write_b128 v65, v[2:5] offset:8064
	ds_write_b128 v8, v[9:12] offset:10080
.LBB0_25:
	s_or_b64 exec, exec, s[2:3]
	s_waitcnt lgkmcnt(0)
	s_barrier
	s_and_saveexec_b64 s[2:3], s[0:1]
	s_cbranch_execz .LBB0_28
; %bb.26:
	v_mov_b32_e32 v57, 0
	v_mov_b32_e32 v0, s13
	v_add_co_u32_e32 v1, vcc, s12, v58
	v_lshlrev_b64 v[14:15], 4, v[56:57]
	ds_read_b128 v[2:5], v65
	ds_read_b128 v[6:9], v65 offset:2016
	ds_read_b128 v[10:13], v65 offset:4032
	v_addc_co_u32_e32 v0, vcc, v0, v59, vcc
	v_add_co_u32_e32 v14, vcc, v1, v14
	v_addc_co_u32_e32 v15, vcc, v0, v15, vcc
	s_waitcnt lgkmcnt(2)
	global_store_dwordx4 v[14:15], v[2:5], off
	s_waitcnt lgkmcnt(1)
	global_store_dwordx4 v[14:15], v[6:9], off offset:2016
	ds_read_b128 v[2:5], v65 offset:6048
	ds_read_b128 v[6:9], v65 offset:8064
	s_movk_i32 s0, 0x1000
	s_waitcnt lgkmcnt(2)
	global_store_dwordx4 v[14:15], v[10:13], off offset:4032
	s_nop 0
	v_add_co_u32_e32 v10, vcc, s0, v14
	v_addc_co_u32_e32 v11, vcc, 0, v15, vcc
	s_waitcnt lgkmcnt(1)
	global_store_dwordx4 v[10:11], v[2:5], off offset:1952
	ds_read_b128 v[2:5], v65 offset:10080
	s_waitcnt lgkmcnt(1)
	global_store_dwordx4 v[10:11], v[6:9], off offset:3968
	ds_read_b128 v[6:9], v65 offset:12096
	s_movk_i32 s0, 0x2000
	v_add_co_u32_e32 v10, vcc, s0, v14
	v_addc_co_u32_e32 v11, vcc, 0, v15, vcc
	s_waitcnt lgkmcnt(1)
	global_store_dwordx4 v[10:11], v[2:5], off offset:1888
	ds_read_b128 v[2:5], v65 offset:14112
	s_waitcnt lgkmcnt(1)
	global_store_dwordx4 v[10:11], v[6:9], off offset:3904
	ds_read_b128 v[6:9], v65 offset:16128
	v_add_co_u32_e32 v10, vcc, 0x3000, v14
	v_addc_co_u32_e32 v11, vcc, 0, v15, vcc
	s_movk_i32 s0, 0x7d
	v_cmp_eq_u32_e32 vcc, s0, v56
	s_waitcnt lgkmcnt(1)
	global_store_dwordx4 v[10:11], v[2:5], off offset:1824
	s_waitcnt lgkmcnt(0)
	global_store_dwordx4 v[10:11], v[6:9], off offset:3840
	s_and_b64 exec, exec, vcc
	s_cbranch_execz .LBB0_28
; %bb.27:
	ds_read_b128 v[2:5], v57 offset:18144
	v_add_co_u32_e32 v6, vcc, 0x4000, v1
	v_addc_co_u32_e32 v7, vcc, 0, v0, vcc
	s_waitcnt lgkmcnt(0)
	global_store_dwordx4 v[6:7], v[2:5], off offset:1760
.LBB0_28:
	s_endpgm
	.section	.rodata,"a",@progbits
	.p2align	6, 0x0
	.amdhsa_kernel fft_rtc_back_len1134_factors_2_3_3_3_3_7_wgs_126_tpt_126_dp_ip_CI_unitstride_sbrr_R2C_dirReg
		.amdhsa_group_segment_fixed_size 0
		.amdhsa_private_segment_fixed_size 0
		.amdhsa_kernarg_size 88
		.amdhsa_user_sgpr_count 6
		.amdhsa_user_sgpr_private_segment_buffer 1
		.amdhsa_user_sgpr_dispatch_ptr 0
		.amdhsa_user_sgpr_queue_ptr 0
		.amdhsa_user_sgpr_kernarg_segment_ptr 1
		.amdhsa_user_sgpr_dispatch_id 0
		.amdhsa_user_sgpr_flat_scratch_init 0
		.amdhsa_user_sgpr_private_segment_size 0
		.amdhsa_uses_dynamic_stack 0
		.amdhsa_system_sgpr_private_segment_wavefront_offset 0
		.amdhsa_system_sgpr_workgroup_id_x 1
		.amdhsa_system_sgpr_workgroup_id_y 0
		.amdhsa_system_sgpr_workgroup_id_z 0
		.amdhsa_system_sgpr_workgroup_info 0
		.amdhsa_system_vgpr_workitem_id 0
		.amdhsa_next_free_vgpr 105
		.amdhsa_next_free_sgpr 30
		.amdhsa_reserve_vcc 1
		.amdhsa_reserve_flat_scratch 0
		.amdhsa_float_round_mode_32 0
		.amdhsa_float_round_mode_16_64 0
		.amdhsa_float_denorm_mode_32 3
		.amdhsa_float_denorm_mode_16_64 3
		.amdhsa_dx10_clamp 1
		.amdhsa_ieee_mode 1
		.amdhsa_fp16_overflow 0
		.amdhsa_exception_fp_ieee_invalid_op 0
		.amdhsa_exception_fp_denorm_src 0
		.amdhsa_exception_fp_ieee_div_zero 0
		.amdhsa_exception_fp_ieee_overflow 0
		.amdhsa_exception_fp_ieee_underflow 0
		.amdhsa_exception_fp_ieee_inexact 0
		.amdhsa_exception_int_div_zero 0
	.end_amdhsa_kernel
	.text
.Lfunc_end0:
	.size	fft_rtc_back_len1134_factors_2_3_3_3_3_7_wgs_126_tpt_126_dp_ip_CI_unitstride_sbrr_R2C_dirReg, .Lfunc_end0-fft_rtc_back_len1134_factors_2_3_3_3_3_7_wgs_126_tpt_126_dp_ip_CI_unitstride_sbrr_R2C_dirReg
                                        ; -- End function
	.section	.AMDGPU.csdata,"",@progbits
; Kernel info:
; codeLenInByte = 9204
; NumSgprs: 34
; NumVgprs: 105
; ScratchSize: 0
; MemoryBound: 0
; FloatMode: 240
; IeeeMode: 1
; LDSByteSize: 0 bytes/workgroup (compile time only)
; SGPRBlocks: 4
; VGPRBlocks: 26
; NumSGPRsForWavesPerEU: 34
; NumVGPRsForWavesPerEU: 105
; Occupancy: 2
; WaveLimiterHint : 1
; COMPUTE_PGM_RSRC2:SCRATCH_EN: 0
; COMPUTE_PGM_RSRC2:USER_SGPR: 6
; COMPUTE_PGM_RSRC2:TRAP_HANDLER: 0
; COMPUTE_PGM_RSRC2:TGID_X_EN: 1
; COMPUTE_PGM_RSRC2:TGID_Y_EN: 0
; COMPUTE_PGM_RSRC2:TGID_Z_EN: 0
; COMPUTE_PGM_RSRC2:TIDIG_COMP_CNT: 0
	.type	__hip_cuid_37920087f9033ef9,@object ; @__hip_cuid_37920087f9033ef9
	.section	.bss,"aw",@nobits
	.globl	__hip_cuid_37920087f9033ef9
__hip_cuid_37920087f9033ef9:
	.byte	0                               ; 0x0
	.size	__hip_cuid_37920087f9033ef9, 1

	.ident	"AMD clang version 19.0.0git (https://github.com/RadeonOpenCompute/llvm-project roc-6.4.0 25133 c7fe45cf4b819c5991fe208aaa96edf142730f1d)"
	.section	".note.GNU-stack","",@progbits
	.addrsig
	.addrsig_sym __hip_cuid_37920087f9033ef9
	.amdgpu_metadata
---
amdhsa.kernels:
  - .args:
      - .actual_access:  read_only
        .address_space:  global
        .offset:         0
        .size:           8
        .value_kind:     global_buffer
      - .offset:         8
        .size:           8
        .value_kind:     by_value
      - .actual_access:  read_only
        .address_space:  global
        .offset:         16
        .size:           8
        .value_kind:     global_buffer
      - .actual_access:  read_only
        .address_space:  global
        .offset:         24
        .size:           8
        .value_kind:     global_buffer
      - .offset:         32
        .size:           8
        .value_kind:     by_value
      - .actual_access:  read_only
        .address_space:  global
        .offset:         40
        .size:           8
        .value_kind:     global_buffer
      - .actual_access:  read_only
        .address_space:  global
        .offset:         48
        .size:           8
        .value_kind:     global_buffer
      - .offset:         56
        .size:           4
        .value_kind:     by_value
      - .actual_access:  read_only
        .address_space:  global
        .offset:         64
        .size:           8
        .value_kind:     global_buffer
      - .actual_access:  read_only
        .address_space:  global
        .offset:         72
        .size:           8
        .value_kind:     global_buffer
      - .address_space:  global
        .offset:         80
        .size:           8
        .value_kind:     global_buffer
    .group_segment_fixed_size: 0
    .kernarg_segment_align: 8
    .kernarg_segment_size: 88
    .language:       OpenCL C
    .language_version:
      - 2
      - 0
    .max_flat_workgroup_size: 126
    .name:           fft_rtc_back_len1134_factors_2_3_3_3_3_7_wgs_126_tpt_126_dp_ip_CI_unitstride_sbrr_R2C_dirReg
    .private_segment_fixed_size: 0
    .sgpr_count:     34
    .sgpr_spill_count: 0
    .symbol:         fft_rtc_back_len1134_factors_2_3_3_3_3_7_wgs_126_tpt_126_dp_ip_CI_unitstride_sbrr_R2C_dirReg.kd
    .uniform_work_group_size: 1
    .uses_dynamic_stack: false
    .vgpr_count:     105
    .vgpr_spill_count: 0
    .wavefront_size: 64
amdhsa.target:   amdgcn-amd-amdhsa--gfx906
amdhsa.version:
  - 1
  - 2
...

	.end_amdgpu_metadata
